;; amdgpu-corpus repo=ROCm/AMDMIGraphX kind=compiled arch=gfx1201 opt=O3
	.text
	.amdgcn_target "amdgcn-amd-amdhsa--gfx1201"
	.amdhsa_code_object_version 6
	.protected	roialign_f32            ; -- Begin function roialign_f32
	.globl	roialign_f32
	.p2align	8
	.type	roialign_f32,@function
roialign_f32:                           ; @roialign_f32
; %bb.0:
	s_load_b32 s2, s[0:1], 0x2c
	s_wait_kmcnt 0x0
	s_and_b32 s2, s2, 0xffff
	s_delay_alu instid0(SALU_CYCLE_1) | instskip(SKIP_1) | instid1(VALU_DEP_1)
	v_mad_co_u64_u32 v[4:5], null, ttmp9, s2, v[0:1]
	s_mov_b32 s2, exec_lo
	v_cmpx_gt_u32_e32 0x320, v4
	s_cbranch_execz .LBB0_18
; %bb.1:
	v_and_b32_e32 v0, 0xffff, v4
	s_load_b256 s[4:11], s[0:1], 0x0
	s_delay_alu instid0(VALU_DEP_1) | instskip(NEXT) | instid1(VALU_DEP_1)
	v_mul_u32_u24_e32 v0, 0xcccd, v0
	v_lshrrev_b32_e32 v5, 18, v0
	s_delay_alu instid0(VALU_DEP_1) | instskip(NEXT) | instid1(VALU_DEP_1)
	v_and_b32_e32 v0, 0xff, v5
	v_mul_lo_u16 v6, 0xcd, v0
	s_delay_alu instid0(VALU_DEP_1) | instskip(SKIP_1) | instid1(VALU_DEP_2)
	v_lshrrev_b16 v7, 12, v6
	v_lshrrev_b16 v15, 10, v6
	v_lshlrev_b16 v0, 2, v7
	s_delay_alu instid0(VALU_DEP_1) | instskip(NEXT) | instid1(VALU_DEP_1)
	v_and_b32_e32 v0, 0xffff, v0
	v_lshlrev_b32_e32 v0, 2, v0
	s_wait_kmcnt 0x0
	global_load_b128 v[0:3], v0, s[6:7]
	s_wait_loadcnt 0x0
	v_dual_sub_f32 v2, v2, v0 :: v_dual_and_b32 v7, 0xffff, v7
	s_delay_alu instid0(VALU_DEP_1) | instskip(NEXT) | instid1(VALU_DEP_2)
	v_lshlrev_b32_e32 v7, 3, v7
	v_dual_sub_f32 v3, v3, v1 :: v_dual_max_num_f32 v2, 1.0, v2
	global_load_b32 v7, v7, s[8:9]
	v_max_num_f32_e32 v3, 1.0, v3
	v_div_scale_f32 v10, null, 0x40a00000, 0x40a00000, v2
	s_delay_alu instid0(VALU_DEP_2) | instskip(SKIP_1) | instid1(VALU_DEP_3)
	v_div_scale_f32 v8, null, 0x40a00000, 0x40a00000, v3
	v_div_scale_f32 v13, vcc_lo, v3, 0x40a00000, v3
	v_rcp_f32_e32 v12, v10
	s_delay_alu instid0(VALU_DEP_2) | instskip(SKIP_1) | instid1(TRANS32_DEP_2)
	v_rcp_f32_e32 v9, v8
	v_div_scale_f32 v17, s0, v2, 0x40a00000, v2
	v_fma_f32 v14, -v10, v12, 1.0
	s_delay_alu instid0(TRANS32_DEP_1) | instskip(NEXT) | instid1(VALU_DEP_1)
	v_fma_f32 v11, -v8, v9, 1.0
	v_fmac_f32_e32 v9, v11, v9
	s_delay_alu instid0(VALU_DEP_1) | instskip(NEXT) | instid1(VALU_DEP_1)
	v_mul_f32_e32 v11, v13, v9
	v_fma_f32 v16, -v8, v11, v13
	v_fmac_f32_e32 v12, v14, v12
	v_mul_lo_u16 v14, v15, 5
	s_delay_alu instid0(VALU_DEP_3) | instskip(SKIP_1) | instid1(VALU_DEP_3)
	v_fmac_f32_e32 v11, v16, v9
	v_mul_lo_u16 v16, v5, 5
	v_sub_nc_u16 v5, v5, v14
	s_delay_alu instid0(VALU_DEP_3) | instskip(NEXT) | instid1(VALU_DEP_2)
	v_fma_f32 v8, -v8, v11, v13
	v_cvt_f32_ubyte0_e32 v5, v5
	s_delay_alu instid0(VALU_DEP_2)
	v_div_fmas_f32 v8, v8, v9, v11
	v_sub_nc_u16 v9, v4, v16
	v_mul_f32_e32 v15, v17, v12
	v_lshrrev_b16 v11, 6, v6
	s_mov_b32 vcc_lo, s0
	v_div_fixup_f32 v6, v8, 0x40a00000, v3
	v_and_b32_e32 v8, 0xffff, v9
	v_fma_f32 v13, -v10, v15, v17
	v_and_b32_e32 v3, 48, v11
	s_delay_alu instid0(VALU_DEP_4) | instskip(SKIP_1) | instid1(VALU_DEP_4)
	v_fmac_f32_e32 v1, v6, v5
	v_mul_f32_e32 v5, 0.5, v6
	v_fmac_f32_e32 v15, v13, v12
	s_delay_alu instid0(VALU_DEP_4) | instskip(NEXT) | instid1(VALU_DEP_3)
	v_and_b32_e32 v3, 0xffff, v3
	v_fma_f32 v5, 0.5, v5, v1
	s_delay_alu instid0(VALU_DEP_3) | instskip(SKIP_1) | instid1(VALU_DEP_4)
	v_fma_f32 v9, -v10, v15, v17
	v_cvt_f32_u32_e32 v10, v8
	v_lshlrev_b32_e32 v3, 4, v3
	s_wait_alu 0xfffe
	s_delay_alu instid0(VALU_DEP_3) | instskip(NEXT) | instid1(VALU_DEP_1)
	v_div_fmas_f32 v9, v9, v12, v15
	v_div_fixup_f32 v8, v9, 0x40a00000, v2
	v_add_f32_e32 v9, 0, v5
	s_delay_alu instid0(VALU_DEP_2) | instskip(SKIP_1) | instid1(VALU_DEP_3)
	v_fma_f32 v5, v8, v10, v0
	v_mov_b32_e32 v0, 0
	v_cmp_ngt_f32_e32 vcc_lo, -1.0, v9
	v_cmp_nlt_f32_e64 s0, 0x41800000, v9
	s_delay_alu instid0(VALU_DEP_1)
	s_and_b32 s0, vcc_lo, s0
	s_wait_loadcnt 0x0
	v_lshl_or_b32 v2, v7, 10, v3
	v_mul_f32_e32 v7, 0.5, v8
	v_mov_b32_e32 v3, 0
	s_wait_alu 0xfffe
	s_and_saveexec_b32 s1, s0
	s_cbranch_execz .LBB0_5
; %bb.2:
	v_fma_f32 v3, 0.5, v7, v5
	s_delay_alu instid0(VALU_DEP_1) | instskip(NEXT) | instid1(VALU_DEP_1)
	v_dual_add_f32 v10, 0, v3 :: v_dual_mov_b32 v3, 0
	v_cmp_ngt_f32_e32 vcc_lo, -1.0, v10
	v_cmp_nlt_f32_e64 s0, 0x41800000, v10
	s_delay_alu instid0(VALU_DEP_1)
	s_and_b32 s0, vcc_lo, s0
	s_wait_alu 0xfffe
	s_and_saveexec_b32 s2, s0
	s_cbranch_execz .LBB0_4
; %bb.3:
	v_dual_max_num_f32 v3, v9, v9 :: v_dual_max_num_f32 v10, v10, v10
	s_delay_alu instid0(VALU_DEP_1) | instskip(NEXT) | instid1(VALU_DEP_1)
	v_dual_max_num_f32 v3, 0, v3 :: v_dual_max_num_f32 v18, 0, v10
	v_cvt_i32_f32_e32 v12, v3
	s_delay_alu instid0(VALU_DEP_2) | instskip(NEXT) | instid1(VALU_DEP_2)
	v_cvt_i32_f32_e32 v19, v18
	v_min_u32_e32 v20, 15, v12
	s_delay_alu instid0(VALU_DEP_2)
	v_min_u32_e32 v10, 15, v19
	v_add_nc_u32_e32 v11, 1, v19
	v_cmp_gt_u32_e32 vcc_lo, 15, v19
	v_lshl_add_u32 v15, v12, 4, 16
	v_lshlrev_b32_e32 v14, 4, v20
	v_or_b32_e32 v16, v10, v2
	v_cmp_gt_u32_e64 s0, 15, v12
	s_wait_alu 0xfffd
	v_cndmask_b32_e32 v13, 15, v11, vcc_lo
	s_delay_alu instid0(VALU_DEP_3) | instskip(SKIP_2) | instid1(VALU_DEP_3)
	v_or_b32_e32 v10, v16, v14
	s_wait_alu 0xf1ff
	v_cndmask_b32_e64 v22, 0xf0, v15, s0
	v_add_nc_u32_e32 v21, v13, v2
	v_mov_b32_e32 v11, 0
	v_cndmask_b32_e64 v3, 0x41700000, v3, s0
	s_delay_alu instid0(VALU_DEP_2) | instskip(NEXT) | instid1(VALU_DEP_4)
	v_lshlrev_b64_e32 v[12:13], 2, v[10:11]
	v_add_nc_u32_e32 v10, v21, v14
	s_delay_alu instid0(VALU_DEP_1) | instskip(SKIP_1) | instid1(VALU_DEP_1)
	v_lshlrev_b64_e32 v[14:15], 2, v[10:11]
	v_add_nc_u32_e32 v10, v22, v16
	v_lshlrev_b64_e32 v[16:17], 2, v[10:11]
	v_add_nc_u32_e32 v10, v21, v22
	s_delay_alu instid0(VALU_DEP_4) | instskip(SKIP_2) | instid1(VALU_DEP_3)
	v_add_co_u32 v14, s0, s4, v14
	s_wait_alu 0xf1ff
	v_add_co_ci_u32_e64 v15, s0, s5, v15, s0
	v_lshlrev_b64_e32 v[10:11], 2, v[10:11]
	v_add_co_u32 v12, s0, s4, v12
	s_wait_alu 0xf1ff
	v_add_co_ci_u32_e64 v13, s0, s5, v13, s0
	global_load_b32 v21, v[14:15], off
	v_add_co_u32 v10, s0, s4, v10
	s_wait_alu 0xf1ff
	v_add_co_ci_u32_e64 v11, s0, s5, v11, s0
	v_add_co_u32 v14, s0, s4, v16
	s_wait_alu 0xf1ff
	v_add_co_ci_u32_e64 v15, s0, s5, v17, s0
	s_clause 0x2
	global_load_b32 v10, v[10:11], off
	global_load_b32 v11, v[12:13], off
	;; [unrolled: 1-line block ×3, first 2 shown]
	v_cvt_f32_i32_e32 v13, v19
	v_cvt_f32_ubyte0_e32 v14, v20
	s_delay_alu instid0(VALU_DEP_2) | instskip(NEXT) | instid1(VALU_DEP_2)
	v_sub_f32_e32 v13, v18, v13
	v_sub_f32_e32 v3, v3, v14
	s_delay_alu instid0(VALU_DEP_1) | instskip(NEXT) | instid1(VALU_DEP_1)
	v_dual_sub_f32 v14, 1.0, v3 :: v_dual_cndmask_b32 v13, 0, v13
	v_dual_sub_f32 v15, 1.0, v13 :: v_dual_mul_f32 v16, v13, v14
	s_delay_alu instid0(VALU_DEP_1) | instskip(SKIP_1) | instid1(VALU_DEP_1)
	v_dual_mul_f32 v14, v14, v15 :: v_dual_mul_f32 v13, v3, v13
	s_wait_loadcnt 0x2
	v_dual_mul_f32 v10, v13, v10 :: v_dual_mul_f32 v3, v3, v15
	s_wait_loadcnt 0x0
	s_delay_alu instid0(VALU_DEP_1) | instskip(NEXT) | instid1(VALU_DEP_1)
	v_dual_mul_f32 v15, v16, v21 :: v_dual_fmac_f32 v10, v3, v12
	v_fmac_f32_e32 v15, v14, v11
	s_delay_alu instid0(VALU_DEP_1) | instskip(NEXT) | instid1(VALU_DEP_1)
	v_add_f32_e32 v3, v15, v10
	v_add_f32_e32 v3, 0, v3
.LBB0_4:
	s_wait_alu 0xfffe
	s_or_b32 exec_lo, exec_lo, s2
.LBB0_5:
	s_wait_alu 0xfffe
	s_or_b32 exec_lo, exec_lo, s1
	v_cmp_ngt_f32_e32 vcc_lo, -1.0, v9
	v_cmp_nlt_f32_e64 s0, 0x41800000, v9
	v_mul_f32_e32 v8, 0x3fc00000, v8
	s_delay_alu instid0(VALU_DEP_2)
	s_and_b32 s0, vcc_lo, s0
	s_wait_alu 0xfffe
	s_and_saveexec_b32 s1, s0
	s_cbranch_execz .LBB0_9
; %bb.6:
	v_fma_f32 v0, 0.5, v8, v5
	s_delay_alu instid0(VALU_DEP_1) | instskip(SKIP_1) | instid1(VALU_DEP_2)
	v_add_f32_e32 v10, 0, v0
	v_mov_b32_e32 v0, 0
	v_cmp_ngt_f32_e32 vcc_lo, -1.0, v10
	v_cmp_nlt_f32_e64 s0, 0x41800000, v10
	s_delay_alu instid0(VALU_DEP_1)
	s_and_b32 s0, vcc_lo, s0
	s_wait_alu 0xfffe
	s_and_saveexec_b32 s2, s0
	s_cbranch_execz .LBB0_8
; %bb.7:
	v_dual_max_num_f32 v0, v9, v9 :: v_dual_max_num_f32 v9, v10, v10
	s_delay_alu instid0(VALU_DEP_1) | instskip(NEXT) | instid1(VALU_DEP_1)
	v_dual_max_num_f32 v0, 0, v0 :: v_dual_max_num_f32 v17, 0, v9
	v_cvt_i32_f32_e32 v11, v0
	s_delay_alu instid0(VALU_DEP_2) | instskip(NEXT) | instid1(VALU_DEP_2)
	v_cvt_i32_f32_e32 v18, v17
	v_min_u32_e32 v19, 15, v11
	s_delay_alu instid0(VALU_DEP_2)
	v_min_u32_e32 v9, 15, v18
	v_add_nc_u32_e32 v10, 1, v18
	v_cmp_gt_u32_e32 vcc_lo, 15, v18
	v_lshl_add_u32 v14, v11, 4, 16
	v_lshlrev_b32_e32 v13, 4, v19
	v_or_b32_e32 v15, v9, v2
	v_cmp_gt_u32_e64 s0, 15, v11
	s_wait_alu 0xfffd
	v_cndmask_b32_e32 v12, 15, v10, vcc_lo
	s_delay_alu instid0(VALU_DEP_3) | instskip(SKIP_2) | instid1(VALU_DEP_3)
	v_or_b32_e32 v9, v15, v13
	s_wait_alu 0xf1ff
	v_cndmask_b32_e64 v21, 0xf0, v14, s0
	v_add_nc_u32_e32 v20, v12, v2
	v_mov_b32_e32 v10, 0
	v_cndmask_b32_e64 v0, 0x41700000, v0, s0
	s_delay_alu instid0(VALU_DEP_2) | instskip(NEXT) | instid1(VALU_DEP_4)
	v_lshlrev_b64_e32 v[11:12], 2, v[9:10]
	v_add_nc_u32_e32 v9, v20, v13
	s_delay_alu instid0(VALU_DEP_1) | instskip(SKIP_1) | instid1(VALU_DEP_1)
	v_lshlrev_b64_e32 v[13:14], 2, v[9:10]
	v_add_nc_u32_e32 v9, v21, v15
	v_lshlrev_b64_e32 v[15:16], 2, v[9:10]
	v_add_nc_u32_e32 v9, v20, v21
	s_delay_alu instid0(VALU_DEP_4) | instskip(SKIP_2) | instid1(VALU_DEP_3)
	v_add_co_u32 v13, s0, s4, v13
	s_wait_alu 0xf1ff
	v_add_co_ci_u32_e64 v14, s0, s5, v14, s0
	v_lshlrev_b64_e32 v[9:10], 2, v[9:10]
	v_add_co_u32 v11, s0, s4, v11
	s_wait_alu 0xf1ff
	v_add_co_ci_u32_e64 v12, s0, s5, v12, s0
	global_load_b32 v20, v[13:14], off
	v_add_co_u32 v9, s0, s4, v9
	s_wait_alu 0xf1ff
	v_add_co_ci_u32_e64 v10, s0, s5, v10, s0
	v_add_co_u32 v13, s0, s4, v15
	s_wait_alu 0xf1ff
	v_add_co_ci_u32_e64 v14, s0, s5, v16, s0
	s_clause 0x2
	global_load_b32 v9, v[9:10], off
	global_load_b32 v10, v[11:12], off
	;; [unrolled: 1-line block ×3, first 2 shown]
	v_cvt_f32_i32_e32 v12, v18
	v_cvt_f32_ubyte0_e32 v13, v19
	s_delay_alu instid0(VALU_DEP_2) | instskip(NEXT) | instid1(VALU_DEP_2)
	v_sub_f32_e32 v12, v17, v12
	v_sub_f32_e32 v0, v0, v13
	s_delay_alu instid0(VALU_DEP_1) | instskip(NEXT) | instid1(VALU_DEP_3)
	v_sub_f32_e32 v13, 1.0, v0
	v_cndmask_b32_e32 v12, 0, v12, vcc_lo
	s_delay_alu instid0(VALU_DEP_1) | instskip(NEXT) | instid1(VALU_DEP_1)
	v_dual_sub_f32 v14, 1.0, v12 :: v_dual_mul_f32 v15, v12, v13
	v_dual_mul_f32 v13, v13, v14 :: v_dual_mul_f32 v12, v0, v12
	v_mul_f32_e32 v0, v0, v14
	s_wait_loadcnt 0x2
	s_delay_alu instid0(VALU_DEP_2) | instskip(SKIP_1) | instid1(VALU_DEP_1)
	v_dual_mul_f32 v14, v15, v20 :: v_dual_mul_f32 v9, v12, v9
	s_wait_loadcnt 0x0
	v_dual_fmac_f32 v14, v13, v10 :: v_dual_fmac_f32 v9, v0, v11
	s_delay_alu instid0(VALU_DEP_1)
	v_add_f32_e32 v0, v14, v9
.LBB0_8:
	s_wait_alu 0xfffe
	s_or_b32 exec_lo, exec_lo, s2
.LBB0_9:
	s_wait_alu 0xfffe
	s_or_b32 exec_lo, exec_lo, s1
	v_dual_mul_f32 v6, 0x3fc00000, v6 :: v_dual_mov_b32 v9, 0
	s_delay_alu instid0(VALU_DEP_1) | instskip(NEXT) | instid1(VALU_DEP_1)
	v_fmac_f32_e32 v1, 0.5, v6
	v_dual_add_f32 v6, 0, v1 :: v_dual_mov_b32 v1, 0
	s_delay_alu instid0(VALU_DEP_1) | instskip(SKIP_1) | instid1(VALU_DEP_1)
	v_cmp_ngt_f32_e32 vcc_lo, -1.0, v6
	v_cmp_nlt_f32_e64 s0, 0x41800000, v6
	s_and_b32 s0, vcc_lo, s0
	s_wait_alu 0xfffe
	s_and_saveexec_b32 s1, s0
	s_cbranch_execz .LBB0_13
; %bb.10:
	v_fma_f32 v7, 0.5, v7, v5
	v_mov_b32_e32 v9, 0
	s_delay_alu instid0(VALU_DEP_2) | instskip(NEXT) | instid1(VALU_DEP_1)
	v_add_f32_e32 v7, 0, v7
	v_cmp_ngt_f32_e32 vcc_lo, -1.0, v7
	v_cmp_nlt_f32_e64 s0, 0x41800000, v7
	s_delay_alu instid0(VALU_DEP_1)
	s_and_b32 s0, vcc_lo, s0
	s_wait_alu 0xfffe
	s_and_saveexec_b32 s2, s0
	s_cbranch_execz .LBB0_12
; %bb.11:
	v_max_num_f32_e32 v7, v7, v7
	s_delay_alu instid0(VALU_DEP_1) | instskip(NEXT) | instid1(VALU_DEP_1)
	v_max_num_f32_e32 v7, 0, v7
	v_cvt_i32_f32_e32 v17, v7
	s_delay_alu instid0(VALU_DEP_1) | instskip(NEXT) | instid1(VALU_DEP_1)
	v_dual_max_num_f32 v9, v6, v6 :: v_dual_add_nc_u32 v10, 1, v17
	v_max_num_f32_e32 v11, 0, v9
	v_cmp_gt_u32_e32 vcc_lo, 15, v17
	v_min_u32_e32 v9, 15, v17
	s_wait_alu 0xfffd
	v_cndmask_b32_e32 v14, 15, v10, vcc_lo
	v_mov_b32_e32 v10, 0
	v_cvt_i32_f32_e32 v12, v11
	v_or_b32_e32 v15, v9, v2
	s_delay_alu instid0(VALU_DEP_4) | instskip(NEXT) | instid1(VALU_DEP_3)
	v_add_nc_u32_e32 v19, v14, v2
	v_min_u32_e32 v18, 15, v12
	v_lshl_add_u32 v16, v12, 4, 16
	v_cmp_gt_u32_e64 s0, 15, v12
	s_delay_alu instid0(VALU_DEP_3) | instskip(SKIP_1) | instid1(VALU_DEP_2)
	v_lshlrev_b32_e32 v13, 4, v18
	s_wait_alu 0xf1ff
	v_cndmask_b32_e64 v20, 0x41700000, v11, s0
	v_cndmask_b32_e64 v21, 0xf0, v16, s0
	s_delay_alu instid0(VALU_DEP_3) | instskip(NEXT) | instid1(VALU_DEP_1)
	v_or_b32_e32 v9, v15, v13
	v_lshlrev_b64_e32 v[11:12], 2, v[9:10]
	v_add_nc_u32_e32 v9, v19, v13
	s_delay_alu instid0(VALU_DEP_1) | instskip(SKIP_1) | instid1(VALU_DEP_1)
	v_lshlrev_b64_e32 v[13:14], 2, v[9:10]
	v_add_nc_u32_e32 v9, v21, v15
	v_lshlrev_b64_e32 v[15:16], 2, v[9:10]
	v_add_nc_u32_e32 v9, v19, v21
	s_delay_alu instid0(VALU_DEP_4) | instskip(SKIP_2) | instid1(VALU_DEP_3)
	v_add_co_u32 v13, s0, s4, v13
	s_wait_alu 0xf1ff
	v_add_co_ci_u32_e64 v14, s0, s5, v14, s0
	v_lshlrev_b64_e32 v[9:10], 2, v[9:10]
	v_add_co_u32 v11, s0, s4, v11
	s_wait_alu 0xf1ff
	v_add_co_ci_u32_e64 v12, s0, s5, v12, s0
	global_load_b32 v19, v[13:14], off
	v_add_co_u32 v9, s0, s4, v9
	s_wait_alu 0xf1ff
	v_add_co_ci_u32_e64 v10, s0, s5, v10, s0
	v_add_co_u32 v13, s0, s4, v15
	s_wait_alu 0xf1ff
	v_add_co_ci_u32_e64 v14, s0, s5, v16, s0
	s_clause 0x2
	global_load_b32 v9, v[9:10], off
	global_load_b32 v10, v[11:12], off
	;; [unrolled: 1-line block ×3, first 2 shown]
	v_cvt_f32_i32_e32 v12, v17
	v_cvt_f32_ubyte0_e32 v13, v18
	s_delay_alu instid0(VALU_DEP_1) | instskip(NEXT) | instid1(VALU_DEP_1)
	v_dual_sub_f32 v7, v7, v12 :: v_dual_sub_f32 v12, v20, v13
	v_cndmask_b32_e32 v7, 0, v7, vcc_lo
	s_delay_alu instid0(VALU_DEP_1) | instskip(NEXT) | instid1(VALU_DEP_1)
	v_dual_sub_f32 v13, 1.0, v12 :: v_dual_sub_f32 v14, 1.0, v7
	v_mul_f32_e32 v15, v7, v13
	v_mul_f32_e32 v7, v12, v7
	s_delay_alu instid0(VALU_DEP_3) | instskip(SKIP_4) | instid1(VALU_DEP_1)
	v_mul_f32_e32 v13, v13, v14
	v_mul_f32_e32 v12, v12, v14
	s_wait_loadcnt 0x3
	v_mul_f32_e32 v14, v15, v19
	s_wait_loadcnt 0x1
	v_dual_mul_f32 v7, v7, v9 :: v_dual_fmac_f32 v14, v13, v10
	s_wait_loadcnt 0x0
	s_delay_alu instid0(VALU_DEP_1) | instskip(NEXT) | instid1(VALU_DEP_1)
	v_fmac_f32_e32 v7, v12, v11
	v_add_f32_e32 v9, v14, v7
.LBB0_12:
	s_wait_alu 0xfffe
	s_or_b32 exec_lo, exec_lo, s2
.LBB0_13:
	s_wait_alu 0xfffe
	s_or_b32 exec_lo, exec_lo, s1
	v_cmp_ngt_f32_e32 vcc_lo, -1.0, v6
	v_cmp_nlt_f32_e64 s0, 0x41800000, v6
	s_delay_alu instid0(VALU_DEP_1)
	s_and_b32 s0, vcc_lo, s0
	s_wait_alu 0xfffe
	s_and_saveexec_b32 s1, s0
	s_cbranch_execz .LBB0_17
; %bb.14:
	v_fmac_f32_e32 v5, 0.5, v8
	v_mov_b32_e32 v1, 0
	s_delay_alu instid0(VALU_DEP_2) | instskip(NEXT) | instid1(VALU_DEP_1)
	v_add_f32_e32 v5, 0, v5
	v_cmp_ngt_f32_e32 vcc_lo, -1.0, v5
	v_cmp_nlt_f32_e64 s0, 0x41800000, v5
	s_delay_alu instid0(VALU_DEP_1)
	s_and_b32 s0, vcc_lo, s0
	s_wait_alu 0xfffe
	s_and_saveexec_b32 s2, s0
	s_cbranch_execz .LBB0_16
; %bb.15:
	v_max_num_f32_e32 v5, v5, v5
	s_delay_alu instid0(VALU_DEP_1) | instskip(NEXT) | instid1(VALU_DEP_1)
	v_dual_max_num_f32 v1, v6, v6 :: v_dual_max_num_f32 v12, 0, v5
	v_max_num_f32_e32 v1, 0, v1
	s_delay_alu instid0(VALU_DEP_2) | instskip(NEXT) | instid1(VALU_DEP_1)
	v_cvt_i32_f32_e32 v13, v12
	v_add_nc_u32_e32 v6, 1, v13
	v_cmp_gt_u32_e32 vcc_lo, 15, v13
	v_min_u32_e32 v5, 15, v13
	s_wait_alu 0xfffd
	s_delay_alu instid0(VALU_DEP_3) | instskip(SKIP_1) | instid1(VALU_DEP_3)
	v_dual_cndmask_b32 v11, 15, v6 :: v_dual_mov_b32 v6, 0
	v_cvt_i32_f32_e32 v7, v1
	v_or_b32_e32 v10, v5, v2
	s_delay_alu instid0(VALU_DEP_3) | instskip(NEXT) | instid1(VALU_DEP_3)
	v_add_nc_u32_e32 v16, v11, v2
	v_min_u32_e32 v14, 15, v7
	v_lshl_add_u32 v15, v7, 4, 16
	v_cmp_gt_u32_e64 s0, 15, v7
	s_delay_alu instid0(VALU_DEP_3) | instskip(SKIP_1) | instid1(VALU_DEP_2)
	v_lshlrev_b32_e32 v8, 4, v14
	s_wait_alu 0xf1ff
	v_cndmask_b32_e64 v17, 0x41700000, v1, s0
	v_cndmask_b32_e64 v15, 0xf0, v15, s0
	s_delay_alu instid0(VALU_DEP_3) | instskip(NEXT) | instid1(VALU_DEP_1)
	v_or_b32_e32 v5, v10, v8
	v_lshlrev_b64_e32 v[1:2], 2, v[5:6]
	v_add_nc_u32_e32 v5, v16, v8
	s_delay_alu instid0(VALU_DEP_1) | instskip(SKIP_1) | instid1(VALU_DEP_1)
	v_lshlrev_b64_e32 v[7:8], 2, v[5:6]
	v_add_nc_u32_e32 v5, v15, v10
	v_lshlrev_b64_e32 v[10:11], 2, v[5:6]
	v_add_nc_u32_e32 v5, v16, v15
	s_delay_alu instid0(VALU_DEP_4) | instskip(SKIP_2) | instid1(VALU_DEP_3)
	v_add_co_u32 v7, s0, s4, v7
	s_wait_alu 0xf1ff
	v_add_co_ci_u32_e64 v8, s0, s5, v8, s0
	v_lshlrev_b64_e32 v[5:6], 2, v[5:6]
	v_add_co_u32 v1, s0, s4, v1
	s_wait_alu 0xf1ff
	v_add_co_ci_u32_e64 v2, s0, s5, v2, s0
	global_load_b32 v15, v[7:8], off
	v_add_co_u32 v5, s0, s4, v5
	s_wait_alu 0xf1ff
	v_add_co_ci_u32_e64 v6, s0, s5, v6, s0
	v_add_co_u32 v7, s0, s4, v10
	s_wait_alu 0xf1ff
	v_add_co_ci_u32_e64 v8, s0, s5, v11, s0
	s_clause 0x2
	global_load_b32 v5, v[5:6], off
	global_load_b32 v1, v[1:2], off
	;; [unrolled: 1-line block ×3, first 2 shown]
	v_cvt_f32_i32_e32 v6, v13
	v_cvt_f32_ubyte0_e32 v7, v14
	s_delay_alu instid0(VALU_DEP_1) | instskip(NEXT) | instid1(VALU_DEP_1)
	v_dual_sub_f32 v6, v12, v6 :: v_dual_sub_f32 v7, v17, v7
	v_cndmask_b32_e32 v6, 0, v6, vcc_lo
	s_delay_alu instid0(VALU_DEP_2) | instskip(NEXT) | instid1(VALU_DEP_1)
	v_sub_f32_e32 v8, 1.0, v7
	v_dual_sub_f32 v10, 1.0, v6 :: v_dual_mul_f32 v11, v6, v8
	v_mul_f32_e32 v6, v7, v6
	s_delay_alu instid0(VALU_DEP_2) | instskip(SKIP_2) | instid1(VALU_DEP_3)
	v_mul_f32_e32 v8, v8, v10
	v_mul_f32_e32 v7, v7, v10
	s_wait_loadcnt 0x2
	v_dual_mul_f32 v10, v11, v15 :: v_dual_mul_f32 v5, v6, v5
	s_wait_loadcnt 0x0
	s_delay_alu instid0(VALU_DEP_1) | instskip(NEXT) | instid1(VALU_DEP_1)
	v_dual_fmac_f32 v10, v8, v1 :: v_dual_fmac_f32 v5, v7, v2
	v_add_f32_e32 v1, v10, v5
.LBB0_16:
	s_wait_alu 0xfffe
	s_or_b32 exec_lo, exec_lo, s2
.LBB0_17:
	s_wait_alu 0xfffe
	s_or_b32 exec_lo, exec_lo, s1
	v_dual_add_f32 v0, v3, v0 :: v_dual_mov_b32 v5, 0
	s_delay_alu instid0(VALU_DEP_1) | instskip(NEXT) | instid1(VALU_DEP_1)
	v_add_f32_e32 v0, v0, v9
	v_add_f32_e32 v2, v0, v1
	s_delay_alu instid0(VALU_DEP_3) | instskip(NEXT) | instid1(VALU_DEP_2)
	v_lshlrev_b64_e32 v[0:1], 2, v[4:5]
	v_mul_f32_e32 v2, 0x3e800000, v2
	s_delay_alu instid0(VALU_DEP_2) | instskip(SKIP_1) | instid1(VALU_DEP_3)
	v_add_co_u32 v0, vcc_lo, s10, v0
	s_wait_alu 0xfffd
	v_add_co_ci_u32_e32 v1, vcc_lo, s11, v1, vcc_lo
	global_store_b32 v[0:1], v2, off
.LBB0_18:
	s_nop 0
	s_sendmsg sendmsg(MSG_DEALLOC_VGPRS)
	s_endpgm
	.section	.rodata,"a",@progbits
	.p2align	6, 0x0
	.amdhsa_kernel roialign_f32
		.amdhsa_group_segment_fixed_size 0
		.amdhsa_private_segment_fixed_size 0
		.amdhsa_kernarg_size 288
		.amdhsa_user_sgpr_count 2
		.amdhsa_user_sgpr_dispatch_ptr 0
		.amdhsa_user_sgpr_queue_ptr 0
		.amdhsa_user_sgpr_kernarg_segment_ptr 1
		.amdhsa_user_sgpr_dispatch_id 0
		.amdhsa_user_sgpr_private_segment_size 0
		.amdhsa_wavefront_size32 1
		.amdhsa_uses_dynamic_stack 0
		.amdhsa_enable_private_segment 0
		.amdhsa_system_sgpr_workgroup_id_x 1
		.amdhsa_system_sgpr_workgroup_id_y 0
		.amdhsa_system_sgpr_workgroup_id_z 0
		.amdhsa_system_sgpr_workgroup_info 0
		.amdhsa_system_vgpr_workitem_id 0
		.amdhsa_next_free_vgpr 23
		.amdhsa_next_free_sgpr 12
		.amdhsa_reserve_vcc 1
		.amdhsa_float_round_mode_32 0
		.amdhsa_float_round_mode_16_64 0
		.amdhsa_float_denorm_mode_32 3
		.amdhsa_float_denorm_mode_16_64 3
		.amdhsa_fp16_overflow 0
		.amdhsa_workgroup_processor_mode 1
		.amdhsa_memory_ordered 1
		.amdhsa_forward_progress 0
		.amdhsa_round_robin_scheduling 0
		.amdhsa_exception_fp_ieee_invalid_op 0
		.amdhsa_exception_fp_denorm_src 0
		.amdhsa_exception_fp_ieee_div_zero 0
		.amdhsa_exception_fp_ieee_overflow 0
		.amdhsa_exception_fp_ieee_underflow 0
		.amdhsa_exception_fp_ieee_inexact 0
		.amdhsa_exception_int_div_zero 0
	.end_amdhsa_kernel
	.text
.Lfunc_end0:
	.size	roialign_f32, .Lfunc_end0-roialign_f32
                                        ; -- End function
	.section	.AMDGPU.csdata,"",@progbits
; Kernel info:
; codeLenInByte = 2676
; NumSgprs: 14
; NumVgprs: 23
; ScratchSize: 0
; MemoryBound: 0
; FloatMode: 240
; IeeeMode: 1
; LDSByteSize: 0 bytes/workgroup (compile time only)
; SGPRBlocks: 1
; VGPRBlocks: 2
; NumSGPRsForWavesPerEU: 14
; NumVGPRsForWavesPerEU: 23
; Occupancy: 16
; WaveLimiterHint : 1
; COMPUTE_PGM_RSRC2:SCRATCH_EN: 0
; COMPUTE_PGM_RSRC2:USER_SGPR: 2
; COMPUTE_PGM_RSRC2:TRAP_HANDLER: 0
; COMPUTE_PGM_RSRC2:TGID_X_EN: 1
; COMPUTE_PGM_RSRC2:TGID_Y_EN: 0
; COMPUTE_PGM_RSRC2:TGID_Z_EN: 0
; COMPUTE_PGM_RSRC2:TIDIG_COMP_CNT: 0
	.text
	.p2alignl 7, 3214868480
	.fill 96, 4, 3214868480
	.type	__hip_cuid_f50fd7f85b462aa,@object ; @__hip_cuid_f50fd7f85b462aa
	.section	.bss,"aw",@nobits
	.globl	__hip_cuid_f50fd7f85b462aa
__hip_cuid_f50fd7f85b462aa:
	.byte	0                               ; 0x0
	.size	__hip_cuid_f50fd7f85b462aa, 1

	.ident	"AMD clang version 19.0.0git (https://github.com/RadeonOpenCompute/llvm-project roc-6.4.0 25133 c7fe45cf4b819c5991fe208aaa96edf142730f1d)"
	.section	".note.GNU-stack","",@progbits
	.addrsig
	.addrsig_sym __hip_cuid_f50fd7f85b462aa
	.amdgpu_metadata
---
amdhsa.kernels:
  - .args:
      - .address_space:  global
        .offset:         0
        .size:           8
        .value_kind:     global_buffer
      - .address_space:  global
        .offset:         8
        .size:           8
        .value_kind:     global_buffer
      - .address_space:  global
        .offset:         16
        .size:           8
        .value_kind:     global_buffer
      - .address_space:  global
        .offset:         24
        .size:           8
        .value_kind:     global_buffer
      - .offset:         32
        .size:           4
        .value_kind:     hidden_block_count_x
      - .offset:         36
        .size:           4
        .value_kind:     hidden_block_count_y
      - .offset:         40
        .size:           4
        .value_kind:     hidden_block_count_z
      - .offset:         44
        .size:           2
        .value_kind:     hidden_group_size_x
      - .offset:         46
        .size:           2
        .value_kind:     hidden_group_size_y
      - .offset:         48
        .size:           2
        .value_kind:     hidden_group_size_z
      - .offset:         50
        .size:           2
        .value_kind:     hidden_remainder_x
      - .offset:         52
        .size:           2
        .value_kind:     hidden_remainder_y
      - .offset:         54
        .size:           2
        .value_kind:     hidden_remainder_z
      - .offset:         72
        .size:           8
        .value_kind:     hidden_global_offset_x
      - .offset:         80
        .size:           8
        .value_kind:     hidden_global_offset_y
      - .offset:         88
        .size:           8
        .value_kind:     hidden_global_offset_z
      - .offset:         96
        .size:           2
        .value_kind:     hidden_grid_dims
    .group_segment_fixed_size: 0
    .kernarg_segment_align: 8
    .kernarg_segment_size: 288
    .language:       OpenCL C
    .language_version:
      - 2
      - 0
    .max_flat_workgroup_size: 1024
    .name:           roialign_f32
    .private_segment_fixed_size: 0
    .sgpr_count:     14
    .sgpr_spill_count: 0
    .symbol:         roialign_f32.kd
    .uniform_work_group_size: 1
    .uses_dynamic_stack: false
    .vgpr_count:     23
    .vgpr_spill_count: 0
    .wavefront_size: 32
    .workgroup_processor_mode: 1
amdhsa.target:   amdgcn-amd-amdhsa--gfx1201
amdhsa.version:
  - 1
  - 2
...

	.end_amdgpu_metadata
